;; amdgpu-corpus repo=ROCm/rocFFT kind=compiled arch=gfx906 opt=O3
	.text
	.amdgcn_target "amdgcn-amd-amdhsa--gfx906"
	.amdhsa_code_object_version 6
	.protected	fft_rtc_back_len1700_factors_17_10_10_wgs_170_tpt_170_halfLds_sp_op_CI_CI_unitstride_sbrr_dirReg ; -- Begin function fft_rtc_back_len1700_factors_17_10_10_wgs_170_tpt_170_halfLds_sp_op_CI_CI_unitstride_sbrr_dirReg
	.globl	fft_rtc_back_len1700_factors_17_10_10_wgs_170_tpt_170_halfLds_sp_op_CI_CI_unitstride_sbrr_dirReg
	.p2align	8
	.type	fft_rtc_back_len1700_factors_17_10_10_wgs_170_tpt_170_halfLds_sp_op_CI_CI_unitstride_sbrr_dirReg,@function
fft_rtc_back_len1700_factors_17_10_10_wgs_170_tpt_170_halfLds_sp_op_CI_CI_unitstride_sbrr_dirReg: ; @fft_rtc_back_len1700_factors_17_10_10_wgs_170_tpt_170_halfLds_sp_op_CI_CI_unitstride_sbrr_dirReg
; %bb.0:
	s_load_dwordx4 s[8:11], s[4:5], 0x58
	s_load_dwordx4 s[12:15], s[4:5], 0x0
	;; [unrolled: 1-line block ×3, first 2 shown]
	v_mul_u32_u24_e32 v1, 0x182, v0
	v_mov_b32_e32 v5, 0
	v_mov_b32_e32 v41, 0
	s_waitcnt lgkmcnt(0)
	v_cmp_lt_u64_e64 s[0:1], s[14:15], 2
	v_add_u32_sdwa v7, s6, v1 dst_sel:DWORD dst_unused:UNUSED_PAD src0_sel:DWORD src1_sel:WORD_1
	v_mov_b32_e32 v8, v5
	s_and_b64 vcc, exec, s[0:1]
	v_mov_b32_e32 v42, 0
	s_cbranch_vccnz .LBB0_8
; %bb.1:
	s_load_dwordx2 s[0:1], s[4:5], 0x10
	s_add_u32 s2, s18, 8
	s_addc_u32 s3, s19, 0
	s_add_u32 s6, s16, 8
	s_addc_u32 s7, s17, 0
	v_mov_b32_e32 v41, 0
	s_waitcnt lgkmcnt(0)
	s_add_u32 s20, s0, 8
	v_mov_b32_e32 v42, 0
	v_mov_b32_e32 v1, v41
	s_addc_u32 s21, s1, 0
	s_mov_b64 s[22:23], 1
	v_mov_b32_e32 v2, v42
.LBB0_2:                                ; =>This Inner Loop Header: Depth=1
	s_load_dwordx2 s[24:25], s[20:21], 0x0
                                        ; implicit-def: $vgpr3_vgpr4
	s_waitcnt lgkmcnt(0)
	v_or_b32_e32 v6, s25, v8
	v_cmp_ne_u64_e32 vcc, 0, v[5:6]
	s_and_saveexec_b64 s[0:1], vcc
	s_xor_b64 s[26:27], exec, s[0:1]
	s_cbranch_execz .LBB0_4
; %bb.3:                                ;   in Loop: Header=BB0_2 Depth=1
	v_cvt_f32_u32_e32 v3, s24
	v_cvt_f32_u32_e32 v4, s25
	s_sub_u32 s0, 0, s24
	s_subb_u32 s1, 0, s25
	v_mac_f32_e32 v3, 0x4f800000, v4
	v_rcp_f32_e32 v3, v3
	v_mul_f32_e32 v3, 0x5f7ffffc, v3
	v_mul_f32_e32 v4, 0x2f800000, v3
	v_trunc_f32_e32 v4, v4
	v_mac_f32_e32 v3, 0xcf800000, v4
	v_cvt_u32_f32_e32 v4, v4
	v_cvt_u32_f32_e32 v3, v3
	v_mul_lo_u32 v6, s0, v4
	v_mul_hi_u32 v9, s0, v3
	v_mul_lo_u32 v11, s1, v3
	v_mul_lo_u32 v10, s0, v3
	v_add_u32_e32 v6, v9, v6
	v_add_u32_e32 v6, v6, v11
	v_mul_hi_u32 v9, v3, v10
	v_mul_lo_u32 v11, v3, v6
	v_mul_hi_u32 v13, v3, v6
	v_mul_hi_u32 v12, v4, v10
	v_mul_lo_u32 v10, v4, v10
	v_mul_hi_u32 v14, v4, v6
	v_add_co_u32_e32 v9, vcc, v9, v11
	v_addc_co_u32_e32 v11, vcc, 0, v13, vcc
	v_mul_lo_u32 v6, v4, v6
	v_add_co_u32_e32 v9, vcc, v9, v10
	v_addc_co_u32_e32 v9, vcc, v11, v12, vcc
	v_addc_co_u32_e32 v10, vcc, 0, v14, vcc
	v_add_co_u32_e32 v6, vcc, v9, v6
	v_addc_co_u32_e32 v9, vcc, 0, v10, vcc
	v_add_co_u32_e32 v3, vcc, v3, v6
	v_addc_co_u32_e32 v4, vcc, v4, v9, vcc
	v_mul_lo_u32 v6, s0, v4
	v_mul_hi_u32 v9, s0, v3
	v_mul_lo_u32 v10, s1, v3
	v_mul_lo_u32 v11, s0, v3
	v_add_u32_e32 v6, v9, v6
	v_add_u32_e32 v6, v6, v10
	v_mul_lo_u32 v12, v3, v6
	v_mul_hi_u32 v13, v3, v11
	v_mul_hi_u32 v14, v3, v6
	v_mul_hi_u32 v10, v4, v11
	v_mul_lo_u32 v11, v4, v11
	v_mul_hi_u32 v9, v4, v6
	v_add_co_u32_e32 v12, vcc, v13, v12
	v_addc_co_u32_e32 v13, vcc, 0, v14, vcc
	v_mul_lo_u32 v6, v4, v6
	v_add_co_u32_e32 v11, vcc, v12, v11
	v_addc_co_u32_e32 v10, vcc, v13, v10, vcc
	v_addc_co_u32_e32 v9, vcc, 0, v9, vcc
	v_add_co_u32_e32 v6, vcc, v10, v6
	v_addc_co_u32_e32 v9, vcc, 0, v9, vcc
	v_add_co_u32_e32 v6, vcc, v3, v6
	v_addc_co_u32_e32 v9, vcc, v4, v9, vcc
	v_mad_u64_u32 v[3:4], s[0:1], v7, v9, 0
	v_mul_hi_u32 v10, v7, v6
	v_add_co_u32_e32 v11, vcc, v10, v3
	v_addc_co_u32_e32 v12, vcc, 0, v4, vcc
	v_mad_u64_u32 v[3:4], s[0:1], v8, v6, 0
	v_mad_u64_u32 v[9:10], s[0:1], v8, v9, 0
	v_add_co_u32_e32 v3, vcc, v11, v3
	v_addc_co_u32_e32 v3, vcc, v12, v4, vcc
	v_addc_co_u32_e32 v4, vcc, 0, v10, vcc
	v_add_co_u32_e32 v6, vcc, v3, v9
	v_addc_co_u32_e32 v9, vcc, 0, v4, vcc
	v_mul_lo_u32 v10, s25, v6
	v_mul_lo_u32 v11, s24, v9
	v_mad_u64_u32 v[3:4], s[0:1], s24, v6, 0
	v_add3_u32 v4, v4, v11, v10
	v_sub_u32_e32 v10, v8, v4
	v_mov_b32_e32 v11, s25
	v_sub_co_u32_e32 v3, vcc, v7, v3
	v_subb_co_u32_e64 v10, s[0:1], v10, v11, vcc
	v_subrev_co_u32_e64 v11, s[0:1], s24, v3
	v_subbrev_co_u32_e64 v10, s[0:1], 0, v10, s[0:1]
	v_cmp_le_u32_e64 s[0:1], s25, v10
	v_cndmask_b32_e64 v12, 0, -1, s[0:1]
	v_cmp_le_u32_e64 s[0:1], s24, v11
	v_cndmask_b32_e64 v11, 0, -1, s[0:1]
	v_cmp_eq_u32_e64 s[0:1], s25, v10
	v_cndmask_b32_e64 v10, v12, v11, s[0:1]
	v_add_co_u32_e64 v11, s[0:1], 2, v6
	v_addc_co_u32_e64 v12, s[0:1], 0, v9, s[0:1]
	v_add_co_u32_e64 v13, s[0:1], 1, v6
	v_addc_co_u32_e64 v14, s[0:1], 0, v9, s[0:1]
	v_subb_co_u32_e32 v4, vcc, v8, v4, vcc
	v_cmp_ne_u32_e64 s[0:1], 0, v10
	v_cmp_le_u32_e32 vcc, s25, v4
	v_cndmask_b32_e64 v10, v14, v12, s[0:1]
	v_cndmask_b32_e64 v12, 0, -1, vcc
	v_cmp_le_u32_e32 vcc, s24, v3
	v_cndmask_b32_e64 v3, 0, -1, vcc
	v_cmp_eq_u32_e32 vcc, s25, v4
	v_cndmask_b32_e32 v3, v12, v3, vcc
	v_cmp_ne_u32_e32 vcc, 0, v3
	v_cndmask_b32_e64 v3, v13, v11, s[0:1]
	v_cndmask_b32_e32 v4, v9, v10, vcc
	v_cndmask_b32_e32 v3, v6, v3, vcc
.LBB0_4:                                ;   in Loop: Header=BB0_2 Depth=1
	s_andn2_saveexec_b64 s[0:1], s[26:27]
	s_cbranch_execz .LBB0_6
; %bb.5:                                ;   in Loop: Header=BB0_2 Depth=1
	v_cvt_f32_u32_e32 v3, s24
	s_sub_i32 s26, 0, s24
	v_rcp_iflag_f32_e32 v3, v3
	v_mul_f32_e32 v3, 0x4f7ffffe, v3
	v_cvt_u32_f32_e32 v3, v3
	v_mul_lo_u32 v4, s26, v3
	v_mul_hi_u32 v4, v3, v4
	v_add_u32_e32 v3, v3, v4
	v_mul_hi_u32 v3, v7, v3
	v_mul_lo_u32 v4, v3, s24
	v_add_u32_e32 v6, 1, v3
	v_sub_u32_e32 v4, v7, v4
	v_subrev_u32_e32 v9, s24, v4
	v_cmp_le_u32_e32 vcc, s24, v4
	v_cndmask_b32_e32 v4, v4, v9, vcc
	v_cndmask_b32_e32 v3, v3, v6, vcc
	v_add_u32_e32 v6, 1, v3
	v_cmp_le_u32_e32 vcc, s24, v4
	v_cndmask_b32_e32 v3, v3, v6, vcc
	v_mov_b32_e32 v4, v5
.LBB0_6:                                ;   in Loop: Header=BB0_2 Depth=1
	s_or_b64 exec, exec, s[0:1]
	v_mul_lo_u32 v6, v4, s24
	v_mul_lo_u32 v11, v3, s25
	v_mad_u64_u32 v[9:10], s[0:1], v3, s24, 0
	s_load_dwordx2 s[0:1], s[6:7], 0x0
	s_load_dwordx2 s[24:25], s[2:3], 0x0
	v_add3_u32 v6, v10, v11, v6
	v_sub_co_u32_e32 v7, vcc, v7, v9
	v_subb_co_u32_e32 v6, vcc, v8, v6, vcc
	s_waitcnt lgkmcnt(0)
	v_mul_lo_u32 v8, s0, v6
	v_mul_lo_u32 v9, s1, v7
	v_mad_u64_u32 v[41:42], s[0:1], s0, v7, v[41:42]
	v_mul_lo_u32 v6, s24, v6
	v_mul_lo_u32 v10, s25, v7
	v_mad_u64_u32 v[1:2], s[0:1], s24, v7, v[1:2]
	s_add_u32 s22, s22, 1
	s_addc_u32 s23, s23, 0
	s_add_u32 s2, s2, 8
	v_add3_u32 v2, v10, v2, v6
	s_addc_u32 s3, s3, 0
	v_mov_b32_e32 v6, s14
	s_add_u32 s6, s6, 8
	v_mov_b32_e32 v7, s15
	s_addc_u32 s7, s7, 0
	v_cmp_ge_u64_e32 vcc, s[22:23], v[6:7]
	s_add_u32 s20, s20, 8
	v_add3_u32 v42, v9, v42, v8
	s_addc_u32 s21, s21, 0
	s_cbranch_vccnz .LBB0_9
; %bb.7:                                ;   in Loop: Header=BB0_2 Depth=1
	v_mov_b32_e32 v8, v4
	v_mov_b32_e32 v7, v3
	s_branch .LBB0_2
.LBB0_8:
	v_mov_b32_e32 v1, v41
	v_mov_b32_e32 v3, v7
	;; [unrolled: 1-line block ×4, first 2 shown]
.LBB0_9:
	s_lshl_b64 s[14:15], s[14:15], 3
	s_load_dwordx2 s[0:1], s[4:5], 0x28
	s_add_u32 s2, s18, s14
	s_mov_b32 s3, 0x1818182
	v_mul_hi_u32 v5, v0, s3
	s_addc_u32 s3, s19, s15
	s_load_dwordx2 s[2:3], s[2:3], 0x0
	s_waitcnt lgkmcnt(0)
	v_cmp_gt_u64_e64 s[0:1], s[0:1], v[3:4]
	v_mul_u32_u24_e32 v5, 0xaa, v5
	v_sub_u32_e32 v6, v0, v5
	v_mov_b32_e32 v24, 0
	v_mov_b32_e32 v5, 0
	;; [unrolled: 1-line block ×3, first 2 shown]
                                        ; implicit-def: $vgpr36
                                        ; implicit-def: $vgpr32
                                        ; implicit-def: $vgpr26
                                        ; implicit-def: $vgpr30
                                        ; implicit-def: $vgpr22
                                        ; implicit-def: $vgpr18
                                        ; implicit-def: $vgpr12
                                        ; implicit-def: $vgpr8
                                        ; implicit-def: $vgpr40
                                        ; implicit-def: $vgpr38
                                        ; implicit-def: $vgpr34
                                        ; implicit-def: $vgpr28
                                        ; implicit-def: $vgpr20
                                        ; implicit-def: $vgpr16
                                        ; implicit-def: $vgpr14
                                        ; implicit-def: $vgpr10
	s_and_saveexec_b64 s[4:5], s[0:1]
	s_cbranch_execz .LBB0_13
; %bb.10:
	s_movk_i32 s6, 0x64
	v_cmp_gt_u32_e32 vcc, s6, v6
	v_mov_b32_e32 v23, 0
	v_mov_b32_e32 v24, 0
                                        ; implicit-def: $vgpr9
                                        ; implicit-def: $vgpr13
                                        ; implicit-def: $vgpr15
                                        ; implicit-def: $vgpr19
                                        ; implicit-def: $vgpr27
                                        ; implicit-def: $vgpr33
                                        ; implicit-def: $vgpr37
                                        ; implicit-def: $vgpr39
                                        ; implicit-def: $vgpr7
                                        ; implicit-def: $vgpr11
                                        ; implicit-def: $vgpr17
                                        ; implicit-def: $vgpr21
                                        ; implicit-def: $vgpr29
                                        ; implicit-def: $vgpr25
                                        ; implicit-def: $vgpr31
                                        ; implicit-def: $vgpr35
	s_and_saveexec_b64 s[6:7], vcc
	s_cbranch_execz .LBB0_12
; %bb.11:
	s_add_u32 s14, s16, s14
	s_addc_u32 s15, s17, s15
	s_load_dwordx2 s[14:15], s[14:15], 0x0
	v_mov_b32_e32 v10, s9
	v_mov_b32_e32 v7, 0
	s_waitcnt lgkmcnt(0)
	v_mul_lo_u32 v0, s15, v3
	v_mul_lo_u32 v5, s14, v4
	v_mad_u64_u32 v[8:9], s[14:15], s14, v3, 0
	v_add3_u32 v9, v9, v5, v0
	v_lshlrev_b64 v[8:9], 3, v[8:9]
	v_add_co_u32_e32 v0, vcc, s8, v8
	v_addc_co_u32_e32 v5, vcc, v10, v9, vcc
	v_lshlrev_b64 v[8:9], 3, v[41:42]
	s_movk_i32 s8, 0x1000
	v_add_co_u32_e32 v0, vcc, v0, v8
	v_lshlrev_b64 v[7:8], 3, v[6:7]
	v_addc_co_u32_e32 v5, vcc, v5, v9, vcc
	v_add_co_u32_e32 v41, vcc, v0, v7
	v_addc_co_u32_e32 v42, vcc, v5, v8, vcc
	v_add_co_u32_e32 v43, vcc, s8, v41
	v_addc_co_u32_e32 v44, vcc, 0, v42, vcc
	s_movk_i32 s8, 0x2000
	v_add_co_u32_e32 v45, vcc, s8, v41
	v_addc_co_u32_e32 v46, vcc, 0, v42, vcc
	v_add_co_u32_e32 v47, vcc, 0x3000, v41
	global_load_dwordx2 v[23:24], v[41:42], off
	global_load_dwordx2 v[35:36], v[41:42], off offset:800
	global_load_dwordx2 v[31:32], v[41:42], off offset:1600
	;; [unrolled: 1-line block ×3, first 2 shown]
	v_addc_co_u32_e32 v48, vcc, 0, v42, vcc
	global_load_dwordx2 v[29:30], v[41:42], off offset:3200
	global_load_dwordx2 v[21:22], v[41:42], off offset:4000
	;; [unrolled: 1-line block ×13, first 2 shown]
.LBB0_12:
	s_or_b64 exec, exec, s[6:7]
	v_mov_b32_e32 v5, v6
.LBB0_13:
	s_or_b64 exec, exec, s[4:5]
	s_movk_i32 s4, 0x64
	v_cmp_gt_u32_e32 vcc, s4, v6
	s_and_saveexec_b64 s[4:5], vcc
	s_cbranch_execz .LBB0_15
; %bb.14:
	s_waitcnt vmcnt(0)
	v_add_f32_e32 v62, v35, v39
	v_mul_f32_e32 v0, 0xbf7ba420, v62
	v_add_f32_e32 v63, v31, v37
	v_sub_f32_e32 v54, v36, v40
	v_mov_b32_e32 v41, v0
	v_mul_f32_e32 v43, 0x3f6eb680, v63
	v_fmac_f32_e32 v41, 0x3e3c28d5, v54
	v_sub_f32_e32 v57, v32, v38
	v_mov_b32_e32 v42, v43
	v_add_f32_e32 v64, v25, v33
	v_add_f32_e32 v41, v23, v41
	v_fmac_f32_e32 v42, 0xbeb8f4ab, v57
	v_mul_f32_e32 v44, 0xbf59a7d5, v64
	v_add_f32_e32 v41, v41, v42
	v_sub_f32_e32 v59, v26, v34
	v_mov_b32_e32 v42, v44
	v_add_f32_e32 v65, v29, v27
	v_fmac_f32_e32 v42, 0x3f06c442, v59
	v_mul_f32_e32 v45, 0x3f3d2fb0, v65
	v_add_f32_e32 v41, v41, v42
	v_sub_f32_e32 v60, v30, v28
	v_mov_b32_e32 v42, v45
	;; [unrolled: 6-line block ×3, first 2 shown]
	v_add_f32_e32 v67, v17, v15
	v_fmac_f32_e32 v42, 0x3f4c4adb, v61
	v_mul_f32_e32 v47, 0x3ee437d1, v67
	v_fmac_f32_e32 v0, 0xbe3c28d5, v54
	v_add_f32_e32 v41, v41, v42
	v_sub_f32_e32 v58, v18, v16
	v_mov_b32_e32 v42, v47
	v_add_f32_e32 v68, v11, v13
	v_add_f32_e32 v0, v23, v0
	v_fmac_f32_e32 v43, 0x3eb8f4ab, v57
	v_fmac_f32_e32 v42, 0xbf65296c, v58
	v_mul_f32_e32 v48, 0xbe8c1d8e, v68
	v_add_f32_e32 v0, v0, v43
	v_fmac_f32_e32 v44, 0xbf06c442, v59
	v_add_f32_e32 v41, v41, v42
	v_sub_f32_e32 v56, v12, v14
	v_mov_b32_e32 v42, v48
	v_add_f32_e32 v69, v7, v9
	v_add_f32_e32 v0, v0, v44
	v_fmac_f32_e32 v45, 0x3f2c7751, v60
	v_fmac_f32_e32 v42, 0x3f763a35, v56
	v_mul_f32_e32 v49, 0x3dbcf732, v69
	v_add_f32_e32 v0, v0, v45
	v_fmac_f32_e32 v46, 0xbf4c4adb, v61
	v_add_f32_e32 v41, v41, v42
	v_sub_f32_e32 v55, v8, v10
	v_mov_b32_e32 v42, v49
	v_add_f32_e32 v0, v0, v46
	v_fmac_f32_e32 v47, 0x3f65296c, v58
	v_fmac_f32_e32 v42, 0xbf7ee86f, v55
	v_add_f32_e32 v0, v0, v47
	v_fmac_f32_e32 v48, 0xbf763a35, v56
	v_add_f32_e32 v42, v41, v42
	v_add_f32_e32 v0, v0, v48
	v_fmac_f32_e32 v49, 0x3f7ee86f, v55
	v_mul_f32_e32 v41, 0xbf59a7d5, v62
	v_add_f32_e32 v43, v0, v49
	v_mov_b32_e32 v0, v41
	v_mul_f32_e32 v44, 0x3ee437d1, v63
	v_fmac_f32_e32 v0, 0x3f06c442, v54
	v_mov_b32_e32 v45, v44
	v_add_f32_e32 v0, v23, v0
	v_fmac_f32_e32 v45, 0xbf65296c, v57
	v_add_f32_e32 v0, v0, v45
	v_mul_f32_e32 v45, 0x3dbcf732, v64
	v_mov_b32_e32 v46, v45
	v_fmac_f32_e32 v46, 0x3f7ee86f, v59
	v_add_f32_e32 v0, v0, v46
	v_mul_f32_e32 v46, 0xbf1a4643, v65
	v_mov_b32_e32 v47, v46
	;; [unrolled: 4-line block ×3, first 2 shown]
	v_fmac_f32_e32 v48, 0x3eb8f4ab, v61
	v_add_f32_e32 v0, v0, v48
	v_mul_f32_e32 v48, 0xbf7ba420, v67
	v_fmac_f32_e32 v41, 0xbf06c442, v54
	v_mov_b32_e32 v49, v48
	v_add_f32_e32 v41, v23, v41
	v_fmac_f32_e32 v44, 0x3f65296c, v57
	v_fmac_f32_e32 v49, 0x3e3c28d5, v58
	v_add_f32_e32 v41, v41, v44
	v_fmac_f32_e32 v45, 0xbf7ee86f, v59
	v_add_f32_e32 v0, v0, v49
	v_mul_f32_e32 v49, 0x3f3d2fb0, v68
	v_add_f32_e32 v41, v41, v45
	v_fmac_f32_e32 v46, 0x3f4c4adb, v60
	v_mov_b32_e32 v50, v49
	v_add_f32_e32 v41, v41, v46
	v_fmac_f32_e32 v47, 0xbeb8f4ab, v61
	v_fmac_f32_e32 v50, 0xbf2c7751, v56
	v_add_f32_e32 v41, v41, v47
	v_fmac_f32_e32 v48, 0xbe3c28d5, v58
	v_add_f32_e32 v0, v0, v50
	v_mul_f32_e32 v50, 0xbe8c1d8e, v69
	v_add_f32_e32 v41, v41, v48
	v_fmac_f32_e32 v49, 0x3f2c7751, v56
	v_mov_b32_e32 v51, v50
	v_add_f32_e32 v41, v41, v49
	v_fmac_f32_e32 v50, 0xbf763a35, v55
	v_mul_f32_e32 v44, 0xbf1a4643, v62
	v_add_f32_e32 v46, v41, v50
	v_mov_b32_e32 v41, v44
	v_mul_f32_e32 v45, 0xbe8c1d8e, v63
	v_fmac_f32_e32 v41, 0x3f4c4adb, v54
	v_mov_b32_e32 v47, v45
	v_add_f32_e32 v41, v23, v41
	v_fmac_f32_e32 v47, 0xbf763a35, v57
	v_add_f32_e32 v41, v41, v47
	v_mul_f32_e32 v47, 0x3f6eb680, v64
	v_mov_b32_e32 v48, v47
	v_fmac_f32_e32 v48, 0x3eb8f4ab, v59
	v_add_f32_e32 v41, v41, v48
	v_mul_f32_e32 v48, 0xbf59a7d5, v65
	v_mov_b32_e32 v49, v48
	v_fmac_f32_e32 v49, 0x3f06c442, v60
	v_add_f32_e32 v41, v41, v49
	v_mul_f32_e32 v49, 0x3dbcf732, v66
	v_mov_b32_e32 v50, v49
	v_fmac_f32_e32 v50, 0xbf7ee86f, v61
	v_fmac_f32_e32 v51, 0x3f763a35, v55
	v_add_f32_e32 v41, v41, v50
	v_mul_f32_e32 v50, 0x3f3d2fb0, v67
	v_fmac_f32_e32 v44, 0xbf4c4adb, v54
	v_add_f32_e32 v0, v0, v51
	v_mov_b32_e32 v51, v50
	v_add_f32_e32 v44, v23, v44
	v_fmac_f32_e32 v45, 0x3f763a35, v57
	v_fmac_f32_e32 v51, 0x3f2c7751, v58
	v_add_f32_e32 v44, v44, v45
	v_fmac_f32_e32 v47, 0xbeb8f4ab, v59
	v_add_f32_e32 v41, v41, v51
	v_mul_f32_e32 v51, 0xbf7ba420, v68
	v_add_f32_e32 v44, v44, v47
	v_fmac_f32_e32 v48, 0xbf06c442, v60
	v_mov_b32_e32 v52, v51
	v_add_f32_e32 v44, v44, v48
	v_fmac_f32_e32 v49, 0x3f7ee86f, v61
	v_fmac_f32_e32 v52, 0x3e3c28d5, v56
	v_add_f32_e32 v44, v44, v49
	v_fmac_f32_e32 v50, 0xbf2c7751, v58
	v_add_f32_e32 v41, v41, v52
	v_mul_f32_e32 v52, 0x3ee437d1, v69
	v_add_f32_e32 v44, v44, v50
	v_fmac_f32_e32 v51, 0xbe3c28d5, v56
	v_mov_b32_e32 v53, v52
	v_add_f32_e32 v44, v44, v51
	v_fmac_f32_e32 v52, 0x3f65296c, v55
	v_mul_f32_e32 v45, 0xbe8c1d8e, v62
	v_add_f32_e32 v48, v44, v52
	v_mov_b32_e32 v44, v45
	v_mul_f32_e32 v47, 0xbf59a7d5, v63
	v_fmac_f32_e32 v44, 0x3f763a35, v54
	v_mov_b32_e32 v49, v47
	v_add_f32_e32 v44, v23, v44
	v_fmac_f32_e32 v49, 0xbf06c442, v57
	v_add_f32_e32 v44, v44, v49
	v_mul_f32_e32 v49, 0x3f3d2fb0, v64
	v_mov_b32_e32 v50, v49
	v_fmac_f32_e32 v50, 0xbf2c7751, v59
	v_add_f32_e32 v44, v44, v50
	v_mul_f32_e32 v50, 0x3ee437d1, v65
	v_mov_b32_e32 v51, v50
	v_fmac_f32_e32 v51, 0x3f65296c, v60
	v_add_f32_e32 v44, v44, v51
	v_mul_f32_e32 v51, 0xbf7ba420, v66
	v_mov_b32_e32 v52, v51
	v_fmac_f32_e32 v52, 0x3e3c28d5, v61
	v_fmac_f32_e32 v53, 0xbf65296c, v55
	v_add_f32_e32 v44, v44, v52
	v_mul_f32_e32 v52, 0x3dbcf732, v67
	v_fmac_f32_e32 v45, 0xbf763a35, v54
	v_add_f32_e32 v41, v41, v53
	v_mov_b32_e32 v53, v52
	v_add_f32_e32 v45, v23, v45
	v_fmac_f32_e32 v47, 0x3f06c442, v57
	v_fmac_f32_e32 v53, 0xbf7ee86f, v58
	v_add_f32_e32 v45, v45, v47
	v_fmac_f32_e32 v49, 0x3f2c7751, v59
	v_add_f32_e32 v44, v44, v53
	v_mul_f32_e32 v53, 0x3f6eb680, v68
	v_add_f32_e32 v45, v45, v49
	v_fmac_f32_e32 v50, 0xbf65296c, v60
	v_mov_b32_e32 v70, v53
	v_add_f32_e32 v45, v45, v50
	v_fmac_f32_e32 v51, 0xbe3c28d5, v61
	v_fmac_f32_e32 v70, 0x3eb8f4ab, v56
	v_add_f32_e32 v45, v45, v51
	v_fmac_f32_e32 v52, 0x3f7ee86f, v58
	v_add_f32_e32 v44, v44, v70
	v_mul_f32_e32 v70, 0xbf1a4643, v69
	v_add_f32_e32 v45, v45, v52
	v_fmac_f32_e32 v53, 0xbeb8f4ab, v56
	v_mov_b32_e32 v71, v70
	v_add_f32_e32 v45, v45, v53
	v_fmac_f32_e32 v70, 0xbf4c4adb, v55
	v_mul_f32_e32 v47, 0x3dbcf732, v62
	v_add_f32_e32 v50, v45, v70
	v_mov_b32_e32 v45, v47
	v_mul_f32_e32 v49, 0xbf7ba420, v63
	v_fmac_f32_e32 v45, 0x3f7ee86f, v54
	v_mov_b32_e32 v51, v49
	v_add_f32_e32 v45, v23, v45
	v_fmac_f32_e32 v51, 0x3e3c28d5, v57
	v_add_f32_e32 v45, v45, v51
	v_mul_f32_e32 v51, 0xbe8c1d8e, v64
	v_mov_b32_e32 v52, v51
	v_fmac_f32_e32 v52, 0xbf763a35, v59
	v_add_f32_e32 v45, v45, v52
	v_mul_f32_e32 v52, 0x3f6eb680, v65
	v_mov_b32_e32 v53, v52
	v_fmac_f32_e32 v53, 0xbeb8f4ab, v60
	v_add_f32_e32 v45, v45, v53
	v_mul_f32_e32 v53, 0x3ee437d1, v66
	v_mov_b32_e32 v70, v53
	v_fmac_f32_e32 v70, 0x3f65296c, v61
	v_fmac_f32_e32 v71, 0x3f4c4adb, v55
	v_add_f32_e32 v45, v45, v70
	v_mul_f32_e32 v70, 0xbf59a7d5, v67
	v_fmac_f32_e32 v47, 0xbf7ee86f, v54
	v_add_f32_e32 v44, v44, v71
	v_mov_b32_e32 v71, v70
	v_add_f32_e32 v47, v23, v47
	v_fmac_f32_e32 v49, 0xbe3c28d5, v57
	v_fmac_f32_e32 v71, 0x3f06c442, v58
	v_add_f32_e32 v47, v47, v49
	v_fmac_f32_e32 v51, 0x3f763a35, v59
	v_add_f32_e32 v45, v45, v71
	v_mul_f32_e32 v71, 0xbf1a4643, v68
	v_add_f32_e32 v47, v47, v51
	v_fmac_f32_e32 v52, 0x3eb8f4ab, v60
	v_mov_b32_e32 v72, v71
	v_add_f32_e32 v47, v47, v52
	v_fmac_f32_e32 v53, 0xbf65296c, v61
	v_fmac_f32_e32 v72, 0xbf4c4adb, v56
	v_add_f32_e32 v47, v47, v53
	v_fmac_f32_e32 v70, 0xbf06c442, v58
	v_add_f32_e32 v45, v45, v72
	v_mul_f32_e32 v72, 0x3f3d2fb0, v69
	v_add_f32_e32 v47, v47, v70
	v_fmac_f32_e32 v71, 0x3f4c4adb, v56
	v_mov_b32_e32 v73, v72
	v_add_f32_e32 v47, v47, v71
	v_fmac_f32_e32 v72, 0x3f2c7751, v55
	v_mul_f32_e32 v49, 0x3ee437d1, v62
	v_add_f32_e32 v51, v47, v72
	v_mov_b32_e32 v47, v49
	v_mul_f32_e32 v52, 0xbf1a4643, v63
	v_fmac_f32_e32 v47, 0x3f65296c, v54
	v_mov_b32_e32 v53, v52
	v_add_f32_e32 v47, v23, v47
	v_fmac_f32_e32 v53, 0x3f4c4adb, v57
	v_add_f32_e32 v47, v47, v53
	v_mul_f32_e32 v53, 0xbf7ba420, v64
	v_mov_b32_e32 v70, v53
	v_fmac_f32_e32 v70, 0xbe3c28d5, v59
	v_add_f32_e32 v47, v47, v70
	v_mul_f32_e32 v70, 0xbe8c1d8e, v65
	v_mov_b32_e32 v71, v70
	v_fmac_f32_e32 v71, 0xbf763a35, v60
	v_add_f32_e32 v47, v47, v71
	v_mul_f32_e32 v71, 0x3f3d2fb0, v66
	v_mov_b32_e32 v72, v71
	v_fmac_f32_e32 v72, 0xbf2c7751, v61
	v_fmac_f32_e32 v73, 0xbf2c7751, v55
	v_add_f32_e32 v47, v47, v72
	v_mul_f32_e32 v72, 0x3f6eb680, v67
	v_fmac_f32_e32 v49, 0xbf65296c, v54
	v_add_f32_e32 v45, v45, v73
	v_mov_b32_e32 v73, v72
	v_add_f32_e32 v49, v23, v49
	v_fmac_f32_e32 v52, 0xbf4c4adb, v57
	v_fmac_f32_e32 v73, 0x3eb8f4ab, v58
	v_add_f32_e32 v49, v49, v52
	v_fmac_f32_e32 v53, 0x3e3c28d5, v59
	v_add_f32_e32 v47, v47, v73
	v_mul_f32_e32 v73, 0x3dbcf732, v68
	v_add_f32_e32 v49, v49, v53
	v_fmac_f32_e32 v70, 0x3f763a35, v60
	v_mov_b32_e32 v74, v73
	v_add_f32_e32 v49, v49, v70
	v_fmac_f32_e32 v71, 0x3f2c7751, v61
	v_fmac_f32_e32 v74, 0x3f7ee86f, v56
	v_add_f32_e32 v49, v49, v71
	v_fmac_f32_e32 v72, 0xbeb8f4ab, v58
	v_add_f32_e32 v47, v47, v74
	v_mul_f32_e32 v74, 0xbf59a7d5, v69
	v_add_f32_e32 v49, v49, v72
	v_fmac_f32_e32 v73, 0xbf7ee86f, v56
	v_mov_b32_e32 v75, v74
	v_add_f32_e32 v49, v49, v73
	v_fmac_f32_e32 v74, 0xbf06c442, v55
	v_mul_f32_e32 v53, 0x3f3d2fb0, v62
	v_add_f32_e32 v52, v49, v74
	v_mov_b32_e32 v49, v53
	v_mul_f32_e32 v70, 0x3dbcf732, v63
	v_fmac_f32_e32 v53, 0xbf2c7751, v54
	v_fmac_f32_e32 v49, 0x3f2c7751, v54
	v_mov_b32_e32 v71, v70
	v_add_f32_e32 v53, v23, v53
	v_fmac_f32_e32 v70, 0xbf7ee86f, v57
	v_add_f32_e32 v49, v23, v49
	v_fmac_f32_e32 v71, 0x3f7ee86f, v57
	v_add_f32_e32 v53, v53, v70
	v_mul_f32_e32 v70, 0x3f6eb680, v62
	v_add_f32_e32 v49, v49, v71
	v_mul_f32_e32 v71, 0xbf1a4643, v64
	v_mov_b32_e32 v62, v70
	v_mov_b32_e32 v72, v71
	v_fmac_f32_e32 v62, 0x3eb8f4ab, v54
	v_fmac_f32_e32 v70, 0xbeb8f4ab, v54
	;; [unrolled: 1-line block ×3, first 2 shown]
	v_add_f32_e32 v62, v23, v62
	v_add_f32_e32 v54, v23, v70
	;; [unrolled: 1-line block ×4, first 2 shown]
	v_mul_f32_e32 v72, 0xbf7ba420, v65
	v_fmac_f32_e32 v71, 0xbf4c4adb, v59
	v_mul_f32_e32 v63, 0x3f3d2fb0, v63
	v_add_f32_e32 v23, v23, v31
	v_mov_b32_e32 v73, v72
	v_add_f32_e32 v53, v53, v71
	v_mov_b32_e32 v71, v63
	v_add_f32_e32 v23, v23, v25
	v_fmac_f32_e32 v73, 0x3e3c28d5, v60
	v_fmac_f32_e32 v71, 0x3f2c7751, v57
	v_mul_f32_e32 v64, 0x3ee437d1, v64
	v_add_f32_e32 v23, v23, v29
	v_add_f32_e32 v49, v49, v73
	v_mul_f32_e32 v73, 0xbf59a7d5, v66
	v_add_f32_e32 v62, v62, v71
	v_mov_b32_e32 v71, v64
	v_add_f32_e32 v23, v23, v21
	v_mov_b32_e32 v74, v73
	v_fmac_f32_e32 v71, 0x3f65296c, v59
	v_mul_f32_e32 v65, 0x3dbcf732, v65
	v_add_f32_e32 v23, v23, v17
	v_fmac_f32_e32 v74, 0xbf06c442, v61
	v_add_f32_e32 v62, v62, v71
	v_mov_b32_e32 v71, v65
	v_add_f32_e32 v23, v23, v11
	v_fmac_f32_e32 v75, 0x3f06c442, v55
	v_add_f32_e32 v49, v49, v74
	v_mul_f32_e32 v74, 0xbe8c1d8e, v67
	v_fmac_f32_e32 v71, 0x3f7ee86f, v60
	v_mul_f32_e32 v66, 0xbe8c1d8e, v66
	v_add_f32_e32 v23, v23, v7
	v_add_f32_e32 v47, v47, v75
	v_mov_b32_e32 v75, v74
	v_add_f32_e32 v62, v62, v71
	v_mov_b32_e32 v71, v66
	v_fmac_f32_e32 v63, 0xbf2c7751, v57
	v_add_f32_e32 v23, v23, v9
	v_fmac_f32_e32 v75, 0xbf763a35, v58
	v_fmac_f32_e32 v71, 0x3f763a35, v61
	v_mul_f32_e32 v67, 0xbf1a4643, v67
	v_add_f32_e32 v54, v54, v63
	v_fmac_f32_e32 v64, 0xbf65296c, v59
	v_add_f32_e32 v23, v13, v23
	v_add_f32_e32 v49, v49, v75
	v_mul_f32_e32 v75, 0x3ee437d1, v68
	v_add_f32_e32 v62, v62, v71
	v_mov_b32_e32 v71, v67
	v_add_f32_e32 v54, v54, v64
	v_fmac_f32_e32 v65, 0xbf7ee86f, v60
	v_add_f32_e32 v23, v15, v23
	v_mov_b32_e32 v76, v75
	v_fmac_f32_e32 v72, 0xbe3c28d5, v60
	v_fmac_f32_e32 v71, 0x3f4c4adb, v58
	v_mul_f32_e32 v68, 0xbf59a7d5, v68
	v_add_f32_e32 v54, v54, v65
	v_fmac_f32_e32 v66, 0xbf763a35, v61
	v_add_f32_e32 v23, v19, v23
	v_fmac_f32_e32 v76, 0xbf65296c, v56
	;; [unrolled: 2-line block ×3, first 2 shown]
	v_add_f32_e32 v62, v62, v71
	v_mov_b32_e32 v71, v68
	v_add_f32_e32 v54, v54, v66
	v_fmac_f32_e32 v67, 0xbf4c4adb, v58
	v_add_f32_e32 v23, v27, v23
	v_add_f32_e32 v49, v49, v76
	v_mul_f32_e32 v76, 0x3f6eb680, v69
	v_add_f32_e32 v53, v53, v73
	v_fmac_f32_e32 v74, 0x3f763a35, v58
	v_fmac_f32_e32 v71, 0x3f06c442, v56
	v_mul_f32_e32 v69, 0xbf7ba420, v69
	v_add_f32_e32 v54, v54, v67
	v_fmac_f32_e32 v68, 0xbf06c442, v56
	v_add_f32_e32 v23, v33, v23
	v_mov_b32_e32 v77, v76
	v_add_f32_e32 v53, v53, v74
	v_fmac_f32_e32 v75, 0x3f65296c, v56
	v_add_f32_e32 v62, v62, v71
	v_mov_b32_e32 v71, v69
	v_add_f32_e32 v54, v54, v68
	v_fmac_f32_e32 v69, 0xbe3c28d5, v55
	v_add_f32_e32 v23, v37, v23
	s_movk_i32 s6, 0x44
	v_fmac_f32_e32 v77, 0xbeb8f4ab, v55
	v_add_f32_e32 v53, v53, v75
	v_fmac_f32_e32 v76, 0x3eb8f4ab, v55
	v_fmac_f32_e32 v71, 0x3e3c28d5, v55
	v_add_f32_e32 v54, v54, v69
	v_add_f32_e32 v55, v39, v23
	v_mad_u32_u24 v23, v6, s6, 0
	v_add_f32_e32 v49, v49, v77
	v_add_f32_e32 v53, v53, v76
	v_add_f32_e32 v62, v62, v71
	ds_write2_b32 v23, v55, v54 offset1:1
	ds_write2_b32 v23, v53, v52 offset0:2 offset1:3
	ds_write2_b32 v23, v51, v50 offset0:4 offset1:5
	;; [unrolled: 1-line block ×7, first 2 shown]
	ds_write_b32 v23, v62 offset:64
.LBB0_15:
	s_or_b64 exec, exec, s[4:5]
	v_lshl_add_u32 v0, v6, 2, 0
	s_waitcnt vmcnt(16)
	v_add_u32_e32 v23, 0x400, v0
	v_add_u32_e32 v51, 0xa00, v0
	;; [unrolled: 1-line block ×4, first 2 shown]
	s_waitcnt vmcnt(0) lgkmcnt(0)
	s_barrier
	ds_read2_b32 v[41:42], v0 offset1:170
	ds_read2_b32 v[49:50], v23 offset0:84 offset1:254
	ds_read2_b32 v[47:48], v51 offset0:40 offset1:210
	;; [unrolled: 1-line block ×4, first 2 shown]
	s_waitcnt lgkmcnt(0)
	s_barrier
	s_and_saveexec_b64 s[4:5], vcc
	s_cbranch_execz .LBB0_17
; %bb.16:
	v_add_f32_e32 v54, v24, v36
	v_add_f32_e32 v54, v54, v32
	;; [unrolled: 1-line block ×14, first 2 shown]
	v_sub_f32_e32 v35, v35, v39
	v_add_f32_e32 v54, v38, v54
	v_add_f32_e32 v36, v36, v40
	v_mul_f32_e32 v39, 0xbeb8f4ab, v35
	s_mov_b32 s14, 0x3f6eb680
	v_mul_f32_e32 v55, 0xbf2c7751, v35
	s_mov_b32 s8, 0x3f3d2fb0
	;; [unrolled: 2-line block ×8, first 2 shown]
	v_add_f32_e32 v54, v40, v54
	v_fma_f32 v40, v36, s14, -v39
	v_fmac_f32_e32 v39, 0x3f6eb680, v36
	v_fma_f32 v56, v36, s8, -v55
	v_fmac_f32_e32 v55, 0x3f3d2fb0, v36
	;; [unrolled: 2-line block ×8, first 2 shown]
	v_sub_f32_e32 v31, v31, v37
	v_add_f32_e32 v40, v24, v40
	v_add_f32_e32 v39, v24, v39
	;; [unrolled: 1-line block ×17, first 2 shown]
	v_mul_f32_e32 v35, 0xbf2c7751, v31
	v_fma_f32 v36, v32, s8, -v35
	v_fmac_f32_e32 v35, 0x3f3d2fb0, v32
	v_mul_f32_e32 v37, 0xbf7ee86f, v31
	v_add_f32_e32 v35, v39, v35
	v_fma_f32 v38, v32, s6, -v37
	v_fmac_f32_e32 v37, 0x3dbcf732, v32
	v_mul_f32_e32 v39, 0xbf4c4adb, v31
	v_add_f32_e32 v36, v40, v36
	v_add_f32_e32 v37, v55, v37
	v_fma_f32 v40, v32, s15, -v39
	v_fmac_f32_e32 v39, 0xbf1a4643, v32
	v_mul_f32_e32 v55, 0xbe3c28d5, v31
	v_add_f32_e32 v38, v56, v38
	;; [unrolled: 5-line block ×4, first 2 shown]
	v_add_f32_e32 v57, v61, v57
	v_fma_f32 v60, v32, s9, -v59
	v_fmac_f32_e32 v59, 0xbe8c1d8e, v32
	v_mul_f32_e32 v61, 0x3f65296c, v31
	v_mul_f32_e32 v31, 0x3eb8f4ab, v31
	v_add_f32_e32 v59, v63, v59
	v_fma_f32 v63, v32, s14, -v31
	v_fmac_f32_e32 v31, 0x3f6eb680, v32
	v_sub_f32_e32 v25, v25, v33
	v_add_f32_e32 v24, v24, v31
	v_add_f32_e32 v26, v26, v34
	v_mul_f32_e32 v31, 0xbf65296c, v25
	v_add_f32_e32 v58, v62, v58
	v_fma_f32 v62, v32, s7, -v61
	v_fmac_f32_e32 v61, 0x3ee437d1, v32
	v_fma_f32 v32, v26, s7, -v31
	v_fmac_f32_e32 v31, 0x3ee437d1, v26
	v_mul_f32_e32 v33, 0xbf4c4adb, v25
	v_add_f32_e32 v31, v35, v31
	v_fma_f32 v34, v26, s15, -v33
	v_fmac_f32_e32 v33, 0xbf1a4643, v26
	v_mul_f32_e32 v35, 0x3e3c28d5, v25
	v_add_f32_e32 v32, v36, v32
	v_add_f32_e32 v33, v37, v33
	v_fma_f32 v36, v26, s17, -v35
	v_fmac_f32_e32 v35, 0xbf7ba420, v26
	v_mul_f32_e32 v37, 0x3f763a35, v25
	v_add_f32_e32 v34, v38, v34
	;; [unrolled: 5-line block ×4, first 2 shown]
	v_add_f32_e32 v39, v57, v39
	v_fma_f32 v56, v26, s14, -v55
	v_fmac_f32_e32 v55, 0x3f6eb680, v26
	v_mul_f32_e32 v57, 0xbf7ee86f, v25
	v_mul_f32_e32 v25, 0xbf06c442, v25
	v_add_f32_e32 v40, v58, v40
	v_add_f32_e32 v55, v59, v55
	v_fma_f32 v58, v26, s6, -v57
	v_fmac_f32_e32 v57, 0x3dbcf732, v26
	v_fma_f32 v59, v26, s16, -v25
	v_fmac_f32_e32 v25, 0xbf59a7d5, v26
	v_sub_f32_e32 v26, v29, v27
	v_add_f32_e32 v24, v24, v25
	v_add_f32_e32 v25, v30, v28
	v_mul_f32_e32 v27, 0xbf7ee86f, v26
	v_fma_f32 v28, v25, s6, -v27
	v_fmac_f32_e32 v27, 0x3dbcf732, v25
	v_mul_f32_e32 v29, 0xbe3c28d5, v26
	v_add_f32_e32 v27, v31, v27
	v_fma_f32 v30, v25, s17, -v29
	v_fmac_f32_e32 v29, 0xbf7ba420, v25
	v_mul_f32_e32 v31, 0x3f763a35, v26
	v_add_f32_e32 v28, v32, v28
	v_add_f32_e32 v29, v33, v29
	v_fma_f32 v32, v25, s9, -v31
	v_fmac_f32_e32 v31, 0xbe8c1d8e, v25
	v_mul_f32_e32 v33, 0x3eb8f4ab, v26
	v_add_f32_e32 v30, v34, v30
	v_add_f32_e32 v31, v35, v31
	v_fma_f32 v34, v25, s14, -v33
	v_fmac_f32_e32 v33, 0x3f6eb680, v25
	v_mul_f32_e32 v35, 0xbf65296c, v26
	v_add_f32_e32 v32, v36, v32
	v_add_f32_e32 v33, v37, v33
	v_fma_f32 v36, v25, s7, -v35
	v_fmac_f32_e32 v35, 0x3ee437d1, v25
	v_mul_f32_e32 v37, 0xbf06c442, v26
	v_sub_f32_e32 v19, v21, v19
	v_add_f32_e32 v34, v38, v34
	v_add_f32_e32 v35, v39, v35
	v_fma_f32 v38, v25, s16, -v37
	v_fmac_f32_e32 v37, 0xbf59a7d5, v25
	v_mul_f32_e32 v39, 0x3f4c4adb, v26
	v_mul_f32_e32 v26, 0x3f2c7751, v26
	v_add_f32_e32 v20, v22, v20
	v_mul_f32_e32 v21, 0xbf763a35, v19
	v_add_f32_e32 v36, v40, v36
	v_add_f32_e32 v37, v55, v37
	v_fma_f32 v40, v25, s15, -v39
	v_fmac_f32_e32 v39, 0xbf1a4643, v25
	v_fma_f32 v55, v25, s8, -v26
	v_fmac_f32_e32 v26, 0x3f3d2fb0, v25
	v_fma_f32 v22, v20, s9, -v21
	v_fmac_f32_e32 v21, 0xbe8c1d8e, v20
	v_mul_f32_e32 v25, 0x3f06c442, v19
	v_add_f32_e32 v24, v24, v26
	v_add_f32_e32 v21, v27, v21
	v_fma_f32 v26, v20, s16, -v25
	v_fmac_f32_e32 v25, 0xbf59a7d5, v20
	v_mul_f32_e32 v27, 0x3f2c7751, v19
	v_add_f32_e32 v22, v28, v22
	v_add_f32_e32 v25, v29, v25
	v_fma_f32 v28, v20, s8, -v27
	v_fmac_f32_e32 v27, 0x3f3d2fb0, v20
	v_mul_f32_e32 v29, 0xbf65296c, v19
	v_add_f32_e32 v26, v30, v26
	v_add_f32_e32 v27, v31, v27
	v_fma_f32 v30, v20, s7, -v29
	v_fmac_f32_e32 v29, 0x3ee437d1, v20
	v_mul_f32_e32 v31, 0xbe3c28d5, v19
	v_add_f32_e32 v28, v32, v28
	v_add_f32_e32 v29, v33, v29
	v_fma_f32 v32, v20, s17, -v31
	v_fmac_f32_e32 v31, 0xbf7ba420, v20
	v_mul_f32_e32 v33, 0x3f7ee86f, v19
	v_sub_f32_e32 v15, v17, v15
	v_add_f32_e32 v30, v34, v30
	v_add_f32_e32 v31, v35, v31
	v_fma_f32 v34, v20, s6, -v33
	v_fmac_f32_e32 v33, 0x3dbcf732, v20
	v_mul_f32_e32 v35, 0xbeb8f4ab, v19
	v_mul_f32_e32 v19, 0xbf4c4adb, v19
	v_add_f32_e32 v16, v18, v16
	v_mul_f32_e32 v17, 0xbf4c4adb, v15
	v_add_f32_e32 v32, v36, v32
	v_add_f32_e32 v33, v37, v33
	v_fma_f32 v36, v20, s14, -v35
	v_fmac_f32_e32 v35, 0x3f6eb680, v20
	v_fma_f32 v37, v20, s15, -v19
	v_fmac_f32_e32 v19, 0xbf1a4643, v20
	v_fma_f32 v18, v16, s15, -v17
	v_fmac_f32_e32 v17, 0xbf1a4643, v16
	v_mul_f32_e32 v20, 0x3f763a35, v15
	v_add_f32_e32 v18, v22, v18
	;; [unrolled: 38-line block ×4, first 2 shown]
	v_add_f32_e32 v62, v66, v62
	v_add_f32_e32 v61, v65, v61
	v_add_f32_e32 v63, v67, v63
	v_add_f32_e32 v10, v14, v10
	v_add_f32_e32 v9, v13, v9
	v_fma_f32 v13, v8, s14, -v12
	v_fmac_f32_e32 v12, 0x3f6eb680, v8
	v_mul_f32_e32 v14, 0xbf06c442, v7
	v_add_f32_e32 v56, v60, v56
	v_add_f32_e32 v58, v62, v58
	v_add_f32_e32 v57, v61, v57
	v_add_f32_e32 v59, v63, v59
	v_add_f32_e32 v11, v15, v11
	v_add_f32_e32 v12, v16, v12
	v_fma_f32 v15, v8, s16, -v14
	v_fmac_f32_e32 v14, 0xbf59a7d5, v8
	v_mul_f32_e32 v16, 0x3f2c7751, v7
	v_add_f32_e32 v38, v56, v38
	;; [unrolled: 9-line block ×4, first 2 shown]
	v_add_f32_e32 v32, v36, v32
	v_add_f32_e32 v31, v35, v31
	;; [unrolled: 1-line block ×5, first 2 shown]
	v_fma_f32 v21, v8, s7, -v20
	v_fmac_f32_e32 v20, 0x3ee437d1, v8
	v_mul_f32_e32 v22, 0xbf763a35, v7
	v_mul_f32_e32 v7, 0x3f7ee86f, v7
	v_add_f32_e32 v26, v30, v26
	v_add_f32_e32 v28, v32, v28
	;; [unrolled: 1-line block ×6, first 2 shown]
	v_fma_f32 v24, v8, s9, -v22
	v_fmac_f32_e32 v22, 0xbe8c1d8e, v8
	v_fma_f32 v25, v8, s6, -v7
	v_fmac_f32_e32 v7, 0x3dbcf732, v8
	v_lshl_add_u32 v8, v6, 6, v0
	v_add_f32_e32 v21, v26, v21
	v_add_f32_e32 v24, v28, v24
	v_add_f32_e32 v22, v27, v22
	v_add_f32_e32 v25, v29, v25
	v_add_f32_e32 v7, v11, v7
	ds_write2_b32 v8, v54, v10 offset1:1
	ds_write2_b32 v8, v13, v15 offset0:2 offset1:3
	ds_write2_b32 v8, v17, v19 offset0:4 offset1:5
	;; [unrolled: 1-line block ×7, first 2 shown]
	ds_write_b32 v8, v9 offset:64
.LBB0_17:
	s_or_b64 exec, exec, s[4:5]
	s_movk_i32 s4, 0xf1
	v_mul_lo_u16_sdwa v7, v6, s4 dst_sel:DWORD dst_unused:UNUSED_PAD src0_sel:BYTE_0 src1_sel:DWORD
	v_lshrrev_b16_e32 v36, 12, v7
	v_mul_lo_u16_e32 v7, 17, v36
	v_sub_u16_e32 v37, v6, v7
	v_mov_b32_e32 v7, 9
	v_mul_u32_u24_sdwa v7, v37, v7 dst_sel:DWORD dst_unused:UNUSED_PAD src0_sel:BYTE_0 src1_sel:DWORD
	v_lshlrev_b32_e32 v26, 3, v7
	s_waitcnt lgkmcnt(0)
	s_barrier
	global_load_dwordx4 v[7:10], v26, s[12:13]
	global_load_dwordx4 v[11:14], v26, s[12:13] offset:16
	global_load_dwordx4 v[15:18], v26, s[12:13] offset:32
	;; [unrolled: 1-line block ×3, first 2 shown]
	global_load_dwordx2 v[24:25], v26, s[12:13] offset:64
	ds_read2_b32 v[26:27], v0 offset1:170
	ds_read2_b32 v[28:29], v23 offset0:84 offset1:254
	ds_read2_b32 v[30:31], v51 offset0:40 offset1:210
	ds_read2_b32 v[32:33], v52 offset0:60 offset1:230
	ds_read2_b32 v[34:35], v53 offset0:80 offset1:250
	s_waitcnt vmcnt(0) lgkmcnt(0)
	s_barrier
	v_mul_f32_e32 v38, v27, v8
	v_mul_f32_e32 v54, v30, v14
	;; [unrolled: 1-line block ×10, first 2 shown]
	v_fmac_f32_e32 v54, v47, v13
	v_fmac_f32_e32 v56, v45, v17
	v_mul_f32_e32 v14, v47, v14
	v_mul_f32_e32 v55, v31, v16
	;; [unrolled: 1-line block ×8, first 2 shown]
	v_fmac_f32_e32 v38, v42, v7
	v_fma_f32 v7, v27, v7, -v8
	v_fmac_f32_e32 v39, v49, v9
	v_fma_f32 v8, v28, v9, -v10
	v_fma_f32 v9, v29, v11, -v12
	;; [unrolled: 1-line block ×3, first 2 shown]
	v_fmac_f32_e32 v58, v43, v21
	v_add_f32_e32 v17, v54, v56
	v_fmac_f32_e32 v40, v50, v11
	v_fma_f32 v10, v30, v13, -v14
	v_fmac_f32_e32 v55, v48, v15
	v_fma_f32 v11, v31, v15, -v16
	v_fma_f32 v13, v33, v19, -v20
	;; [unrolled: 1-line block ×3, first 2 shown]
	v_fmac_f32_e32 v59, v44, v24
	v_fma_f32 v15, v35, v24, -v25
	v_sub_f32_e32 v20, v39, v54
	v_sub_f32_e32 v21, v58, v56
	v_add_f32_e32 v22, v39, v58
	v_sub_f32_e32 v24, v54, v39
	v_sub_f32_e32 v25, v56, v58
	v_fma_f32 v17, -0.5, v17, v41
	v_add_f32_e32 v16, v41, v39
	v_sub_f32_e32 v18, v8, v14
	v_add_f32_e32 v27, v26, v8
	v_add_f32_e32 v28, v10, v12
	v_add_f32_e32 v20, v20, v21
	v_fmac_f32_e32 v41, -0.5, v22
	v_add_f32_e32 v21, v24, v25
	v_mov_b32_e32 v25, v17
	v_fmac_f32_e32 v57, v46, v19
	v_sub_f32_e32 v19, v10, v12
	v_add_f32_e32 v22, v27, v10
	v_fma_f32 v24, -0.5, v28, v26
	v_fmac_f32_e32 v17, 0x3f737871, v18
	v_mov_b32_e32 v27, v41
	v_fmac_f32_e32 v25, 0xbf737871, v18
	v_sub_f32_e32 v29, v39, v58
	v_fmac_f32_e32 v41, 0xbf737871, v19
	v_mov_b32_e32 v28, v24
	v_fmac_f32_e32 v17, 0x3f167918, v19
	v_fmac_f32_e32 v27, 0x3f737871, v19
	;; [unrolled: 1-line block ×8, first 2 shown]
	v_sub_f32_e32 v18, v54, v56
	v_sub_f32_e32 v19, v8, v10
	;; [unrolled: 1-line block ×3, first 2 shown]
	v_fmac_f32_e32 v24, 0xbf737871, v29
	v_fmac_f32_e32 v28, 0x3f167918, v18
	v_add_f32_e32 v19, v19, v20
	v_fmac_f32_e32 v24, 0xbf167918, v18
	v_fmac_f32_e32 v28, 0x3e9e377a, v19
	;; [unrolled: 1-line block ×3, first 2 shown]
	v_add_f32_e32 v19, v8, v14
	v_sub_f32_e32 v8, v10, v8
	v_sub_f32_e32 v10, v12, v14
	v_add_f32_e32 v8, v8, v10
	v_add_f32_e32 v10, v55, v57
	;; [unrolled: 1-line block ×3, first 2 shown]
	v_fmac_f32_e32 v26, -0.5, v19
	v_fma_f32 v10, -0.5, v10, v38
	v_add_f32_e32 v22, v22, v14
	v_mov_b32_e32 v19, v26
	v_sub_f32_e32 v12, v9, v15
	v_mov_b32_e32 v14, v10
	v_fmac_f32_e32 v41, 0x3e9e377a, v21
	v_fmac_f32_e32 v27, 0x3e9e377a, v21
	;; [unrolled: 1-line block ×5, first 2 shown]
	v_sub_f32_e32 v18, v11, v13
	v_sub_f32_e32 v20, v40, v55
	;; [unrolled: 1-line block ×3, first 2 shown]
	v_fmac_f32_e32 v10, 0x3f737871, v12
	v_fmac_f32_e32 v14, 0xbf167918, v18
	v_add_f32_e32 v20, v20, v21
	v_fmac_f32_e32 v10, 0x3f167918, v18
	v_fmac_f32_e32 v19, 0x3f167918, v29
	;; [unrolled: 1-line block ×5, first 2 shown]
	v_add_f32_e32 v20, v40, v59
	v_fmac_f32_e32 v19, 0x3e9e377a, v8
	v_fmac_f32_e32 v26, 0x3e9e377a, v8
	v_add_f32_e32 v8, v38, v40
	v_fmac_f32_e32 v38, -0.5, v20
	v_mov_b32_e32 v20, v38
	v_fmac_f32_e32 v20, 0x3f737871, v18
	v_sub_f32_e32 v21, v55, v40
	v_sub_f32_e32 v29, v57, v59
	v_fmac_f32_e32 v38, 0xbf737871, v18
	v_add_f32_e32 v18, v11, v13
	v_fmac_f32_e32 v20, 0xbf167918, v12
	v_add_f32_e32 v21, v21, v29
	v_fmac_f32_e32 v38, 0x3f167918, v12
	v_fma_f32 v18, -0.5, v18, v7
	v_fmac_f32_e32 v20, 0x3e9e377a, v21
	v_fmac_f32_e32 v38, 0x3e9e377a, v21
	v_sub_f32_e32 v21, v40, v59
	v_mov_b32_e32 v29, v18
	v_fmac_f32_e32 v29, 0x3f737871, v21
	v_sub_f32_e32 v30, v55, v57
	v_sub_f32_e32 v31, v9, v11
	;; [unrolled: 1-line block ×3, first 2 shown]
	v_fmac_f32_e32 v18, 0xbf737871, v21
	v_fmac_f32_e32 v29, 0x3f167918, v30
	v_add_f32_e32 v31, v31, v32
	v_fmac_f32_e32 v18, 0xbf167918, v30
	v_fmac_f32_e32 v29, 0x3e9e377a, v31
	;; [unrolled: 1-line block ×3, first 2 shown]
	v_add_f32_e32 v31, v9, v15
	v_add_f32_e32 v12, v7, v9
	v_fmac_f32_e32 v7, -0.5, v31
	v_add_f32_e32 v12, v12, v11
	v_mov_b32_e32 v31, v7
	v_sub_f32_e32 v9, v11, v9
	v_sub_f32_e32 v11, v13, v15
	v_fmac_f32_e32 v7, 0x3f737871, v30
	v_add_f32_e32 v16, v16, v54
	v_add_f32_e32 v8, v8, v55
	v_fmac_f32_e32 v31, 0xbf737871, v30
	v_add_f32_e32 v9, v9, v11
	v_fmac_f32_e32 v7, 0xbf167918, v21
	v_add_f32_e32 v16, v16, v56
	v_add_f32_e32 v8, v8, v57
	;; [unrolled: 1-line block ×3, first 2 shown]
	v_fmac_f32_e32 v31, 0x3f167918, v21
	v_fmac_f32_e32 v7, 0x3e9e377a, v9
	v_mul_f32_e32 v33, 0xbf167918, v18
	v_add_f32_e32 v16, v16, v58
	v_add_f32_e32 v8, v8, v59
	;; [unrolled: 1-line block ×3, first 2 shown]
	v_fmac_f32_e32 v31, 0x3e9e377a, v9
	v_mul_f32_e32 v11, 0xbf167918, v29
	v_mul_f32_e32 v30, 0xbf737871, v7
	v_fmac_f32_e32 v33, 0xbf4f1bbd, v10
	v_mul_f32_e32 v7, 0xbe9e377a, v7
	v_add_f32_e32 v9, v16, v8
	v_fmac_f32_e32 v11, 0x3f4f1bbd, v14
	v_mul_f32_e32 v15, 0xbf737871, v31
	v_add_f32_e32 v34, v17, v33
	v_add_f32_e32 v35, v22, v12
	v_mul_f32_e32 v29, 0x3f4f1bbd, v29
	v_fmac_f32_e32 v7, 0x3f737871, v38
	v_mul_f32_e32 v18, 0xbf4f1bbd, v18
	v_sub_f32_e32 v8, v16, v8
	v_sub_f32_e32 v16, v17, v33
	;; [unrolled: 1-line block ×3, first 2 shown]
	v_mov_b32_e32 v12, 2
	v_add_f32_e32 v13, v25, v11
	v_fmac_f32_e32 v15, 0x3e9e377a, v20
	v_fmac_f32_e32 v30, 0xbe9e377a, v38
	v_fmac_f32_e32 v29, 0x3f167918, v14
	v_mul_f32_e32 v14, 0x3e9e377a, v31
	v_add_f32_e32 v31, v26, v7
	v_fmac_f32_e32 v18, 0x3f167918, v10
	v_sub_f32_e32 v10, v25, v11
	v_sub_f32_e32 v25, v26, v7
	v_mul_u32_u24_e32 v7, 0x2a8, v36
	v_lshlrev_b32_sdwa v12, v12, v37 dst_sel:DWORD dst_unused:UNUSED_PAD src0_sel:DWORD src1_sel:BYTE_0
	v_add_f32_e32 v21, v27, v15
	v_fmac_f32_e32 v14, 0x3f737871, v20
	v_add_f32_e32 v38, v24, v18
	v_sub_f32_e32 v11, v27, v15
	v_sub_f32_e32 v15, v41, v30
	;; [unrolled: 1-line block ×3, first 2 shown]
	v_add3_u32 v24, 0, v7, v12
	v_add_f32_e32 v32, v41, v30
	v_add_f32_e32 v20, v19, v14
	v_sub_f32_e32 v19, v19, v14
	ds_write2_b32 v24, v9, v13 offset1:17
	ds_write2_b32 v24, v21, v32 offset0:34 offset1:51
	ds_write2_b32 v24, v34, v8 offset0:68 offset1:85
	;; [unrolled: 1-line block ×4, first 2 shown]
	s_waitcnt lgkmcnt(0)
	s_barrier
	ds_read2_b32 v[7:8], v0 offset1:170
	ds_read2_b32 v[13:14], v23 offset0:84 offset1:254
	ds_read2_b32 v[9:10], v51 offset0:40 offset1:210
	;; [unrolled: 1-line block ×4, first 2 shown]
	v_add_f32_e32 v39, v28, v29
	v_sub_f32_e32 v22, v28, v29
	s_waitcnt lgkmcnt(0)
	s_barrier
	ds_write2_b32 v24, v35, v39 offset1:17
	ds_write2_b32 v24, v20, v31 offset0:34 offset1:51
	ds_write2_b32 v24, v38, v17 offset0:68 offset1:85
	;; [unrolled: 1-line block ×4, first 2 shown]
	s_waitcnt lgkmcnt(0)
	s_barrier
	s_and_saveexec_b64 s[4:5], s[0:1]
	s_cbranch_execz .LBB0_19
; %bb.18:
	v_mul_u32_u24_e32 v6, 9, v6
	v_lshlrev_b32_e32 v6, 3, v6
	global_load_dwordx4 v[17:20], v6, s[12:13] offset:1224
	global_load_dwordx4 v[21:24], v6, s[12:13] offset:1240
	global_load_dwordx4 v[25:28], v6, s[12:13] offset:1272
	global_load_dwordx4 v[29:32], v6, s[12:13] offset:1256
	global_load_dwordx2 v[33:34], v6, s[12:13] offset:1288
	v_add_u32_e32 v37, 0x400, v0
	v_add_u32_e32 v39, 0xa00, v0
	;; [unrolled: 1-line block ×4, first 2 shown]
	v_mul_lo_u32 v6, s3, v3
	v_mul_lo_u32 v45, s2, v4
	v_mad_u64_u32 v[3:4], s[0:1], s2, v3, 0
	ds_read2_b32 v[35:36], v0 offset1:170
	ds_read2_b32 v[37:38], v37 offset0:84 offset1:254
	ds_read2_b32 v[39:40], v39 offset0:40 offset1:210
	;; [unrolled: 1-line block ×4, first 2 shown]
	s_movk_i32 s0, 0x1000
	v_add3_u32 v4, v4, v45, v6
	v_lshlrev_b64 v[3:4], 3, v[3:4]
	v_add_co_u32_e32 v3, vcc, s10, v3
	s_waitcnt vmcnt(4)
	v_mul_f32_e32 v0, v13, v20
	s_waitcnt vmcnt(3)
	v_mul_f32_e32 v6, v9, v24
	;; [unrolled: 2-line block ×4, first 2 shown]
	s_waitcnt lgkmcnt(3)
	v_mul_f32_e32 v20, v37, v20
	s_waitcnt lgkmcnt(2)
	v_mul_f32_e32 v24, v39, v24
	;; [unrolled: 2-line block ×3, first 2 shown]
	v_fma_f32 v0, v37, v19, -v0
	v_fma_f32 v6, v39, v23, -v6
	;; [unrolled: 1-line block ×4, first 2 shown]
	s_waitcnt vmcnt(0)
	v_mul_f32_e32 v49, v16, v33
	v_mul_f32_e32 v16, v16, v34
	v_fmac_f32_e32 v20, v13, v19
	v_fmac_f32_e32 v24, v9, v23
	v_fmac_f32_e32 v32, v11, v31
	v_sub_f32_e32 v9, v0, v6
	v_sub_f32_e32 v11, v37, v39
	v_add_f32_e32 v13, v6, v39
	v_mul_f32_e32 v47, v14, v21
	v_mul_f32_e32 v48, v10, v29
	;; [unrolled: 1-line block ×3, first 2 shown]
	v_fma_f32 v16, v42, v33, -v16
	v_add_f32_e32 v31, v9, v11
	v_fma_f32 v33, -0.5, v13, v35
	v_sub_f32_e32 v11, v6, v0
	v_sub_f32_e32 v13, v39, v37
	v_mul_f32_e32 v14, v14, v22
	v_fmac_f32_e32 v47, v38, v22
	v_fmac_f32_e32 v48, v40, v30
	;; [unrolled: 1-line block ×4, first 2 shown]
	v_add_f32_e32 v13, v11, v13
	v_add_f32_e32 v11, v0, v37
	v_mul_f32_e32 v28, v41, v28
	v_mul_f32_e32 v51, v8, v17
	;; [unrolled: 1-line block ×4, first 2 shown]
	v_fma_f32 v14, v38, v21, -v14
	v_fma_f32 v38, -0.5, v11, v35
	v_sub_f32_e32 v11, v48, v47
	v_sub_f32_e32 v41, v50, v49
	v_fmac_f32_e32 v51, v36, v18
	v_fma_f32 v10, v40, v29, -v10
	v_fma_f32 v12, v44, v25, -v12
	v_add_f32_e32 v41, v11, v41
	v_add_f32_e32 v11, v47, v49
	v_mul_f32_e32 v8, v8, v18
	v_fma_f32 v42, -0.5, v11, v51
	v_sub_f32_e32 v11, v10, v14
	v_sub_f32_e32 v44, v12, v16
	v_fmac_f32_e32 v28, v15, v27
	v_fma_f32 v8, v36, v17, -v8
	v_sub_f32_e32 v18, v47, v48
	v_sub_f32_e32 v19, v49, v50
	v_add_f32_e32 v21, v48, v50
	v_sub_f32_e32 v25, v14, v10
	v_sub_f32_e32 v26, v16, v12
	v_add_f32_e32 v27, v10, v12
	v_add_f32_e32 v44, v11, v44
	;; [unrolled: 1-line block ×4, first 2 shown]
	v_fma_f32 v19, -0.5, v21, v51
	v_add_f32_e32 v21, v25, v26
	v_fma_f32 v25, -0.5, v27, v8
	v_fma_f32 v45, -0.5, v11, v8
	v_add_f32_e32 v8, v14, v8
	v_sub_f32_e32 v30, v48, v50
	v_mov_b32_e32 v46, v45
	v_add_f32_e32 v8, v10, v8
	v_sub_f32_e32 v15, v20, v28
	v_sub_f32_e32 v29, v47, v49
	v_mov_b32_e32 v26, v33
	v_mov_b32_e32 v34, v25
	v_fmac_f32_e32 v46, 0x3f737871, v30
	v_fmac_f32_e32 v45, 0xbf737871, v30
	v_add_f32_e32 v8, v12, v8
	v_sub_f32_e32 v17, v24, v32
	v_sub_f32_e32 v23, v10, v12
	v_fmac_f32_e32 v26, 0xbf737871, v15
	v_fmac_f32_e32 v34, 0xbf737871, v29
	v_mov_b32_e32 v40, v38
	v_fmac_f32_e32 v46, 0xbf167918, v29
	v_fmac_f32_e32 v45, 0x3f167918, v29
	;; [unrolled: 1-line block ×4, first 2 shown]
	v_add_f32_e32 v29, v16, v8
	v_sub_f32_e32 v8, v20, v24
	v_sub_f32_e32 v10, v28, v32
	;; [unrolled: 1-line block ×3, first 2 shown]
	v_fmac_f32_e32 v26, 0xbf167918, v17
	v_fmac_f32_e32 v40, 0x3f737871, v17
	v_fmac_f32_e32 v38, 0xbf737871, v17
	v_fmac_f32_e32 v33, 0x3f167918, v17
	v_add_f32_e32 v17, v0, v35
	v_add_f32_e32 v14, v8, v10
	v_sub_f32_e32 v10, v24, v20
	v_sub_f32_e32 v12, v32, v28
	v_mov_b32_e32 v43, v42
	v_add_f32_e32 v17, v6, v17
	v_add_f32_e32 v12, v10, v12
	;; [unrolled: 1-line block ×3, first 2 shown]
	v_mov_b32_e32 v27, v19
	v_fmac_f32_e32 v43, 0xbf737871, v23
	v_fmac_f32_e32 v42, 0x3f737871, v23
	v_add_f32_e32 v17, v39, v17
	v_add_f32_e32 v8, v24, v32
	v_fma_f32 v35, -0.5, v10, v7
	v_fmac_f32_e32 v27, 0x3f737871, v22
	v_fmac_f32_e32 v34, 0xbf167918, v30
	;; [unrolled: 1-line block ×6, first 2 shown]
	v_add_f32_e32 v22, v37, v17
	v_fma_f32 v30, -0.5, v8, v7
	v_sub_f32_e32 v0, v0, v37
	v_sub_f32_e32 v6, v6, v39
	v_mov_b32_e32 v37, v35
	v_fmac_f32_e32 v26, 0x3e9e377a, v31
	v_fmac_f32_e32 v33, 0x3e9e377a, v31
	;; [unrolled: 1-line block ×4, first 2 shown]
	v_mov_b32_e32 v31, v30
	v_fmac_f32_e32 v37, 0xbf737871, v6
	v_fmac_f32_e32 v35, 0x3f737871, v6
	;; [unrolled: 1-line block ×8, first 2 shown]
	v_mul_f32_e32 v0, 0xbf167918, v25
	v_fmac_f32_e32 v31, 0x3f167918, v6
	v_fmac_f32_e32 v30, 0x3e9e377a, v14
	;; [unrolled: 1-line block ×3, first 2 shown]
	v_add_f32_e32 v6, v7, v20
	v_add_f32_e32 v7, v47, v51
	v_fmac_f32_e32 v27, 0x3f167918, v23
	v_fmac_f32_e32 v34, 0x3e9e377a, v21
	;; [unrolled: 1-line block ×3, first 2 shown]
	v_sub_f32_e32 v14, v30, v0
	v_add_f32_e32 v6, v6, v24
	v_add_f32_e32 v7, v48, v7
	;; [unrolled: 1-line block ×3, first 2 shown]
	v_mov_b32_e32 v0, s11
	v_fmac_f32_e32 v27, 0x3e9e377a, v18
	v_mul_f32_e32 v36, 0xbf4f1bbd, v34
	v_add_f32_e32 v6, v6, v32
	v_add_f32_e32 v7, v50, v7
	v_addc_co_u32_e32 v4, vcc, v0, v4, vcc
	v_lshlrev_b64 v[0:1], 3, v[1:2]
	v_fmac_f32_e32 v36, 0x3f167918, v27
	v_mul_f32_e32 v18, 0x3f4f1bbd, v25
	v_add_f32_e32 v6, v28, v6
	v_add_f32_e32 v7, v49, v7
	v_sub_f32_e32 v9, v26, v36
	v_fmac_f32_e32 v18, 0x3f167918, v19
	v_sub_f32_e32 v16, v6, v7
	v_add_f32_e32 v19, v26, v36
	v_add_f32_e32 v26, v6, v7
	v_mov_b32_e32 v6, 0
	v_add_co_u32_e32 v2, vcc, v3, v0
	v_addc_co_u32_e32 v3, vcc, v4, v1, vcc
	v_lshlrev_b64 v[0:1], 3, v[5:6]
	v_fmac_f32_e32 v46, 0x3e9e377a, v44
	v_add_co_u32_e32 v0, vcc, v2, v0
	v_fmac_f32_e32 v43, 0x3e9e377a, v41
	v_mul_f32_e32 v52, 0xbe9e377a, v46
	v_fmac_f32_e32 v45, 0x3e9e377a, v44
	v_mul_f32_e32 v39, 0xbf737871, v46
	v_addc_co_u32_e32 v1, vcc, v3, v1, vcc
	v_fmac_f32_e32 v40, 0xbf167918, v15
	v_fmac_f32_e32 v52, 0x3f737871, v43
	;; [unrolled: 1-line block ×4, first 2 shown]
	v_mul_f32_e32 v41, 0x3e9e377a, v45
	v_mul_f32_e32 v34, 0xbf167918, v34
	v_fmac_f32_e32 v39, 0xbe9e377a, v43
	v_mul_f32_e32 v43, 0xbf737871, v45
	v_add_co_u32_e32 v2, vcc, s0, v0
	v_fmac_f32_e32 v40, 0x3e9e377a, v13
	v_fmac_f32_e32 v38, 0x3e9e377a, v13
	;; [unrolled: 1-line block ×7, first 2 shown]
	v_add_f32_e32 v27, v22, v29
	v_addc_co_u32_e32 v3, vcc, 0, v1, vcc
	v_sub_f32_e32 v17, v22, v29
	v_add_f32_e32 v21, v40, v52
	v_add_f32_e32 v23, v38, v41
	;; [unrolled: 1-line block ×5, first 2 shown]
	global_store_dwordx2 v[0:1], v[26:27], off
	global_store_dwordx2 v[0:1], v[24:25], off offset:1360
	global_store_dwordx2 v[0:1], v[22:23], off offset:2720
	;; [unrolled: 1-line block ×3, first 2 shown]
	v_add_co_u32_e32 v0, vcc, 0x2000, v0
	v_sub_f32_e32 v13, v38, v41
	v_sub_f32_e32 v15, v33, v18
	;; [unrolled: 1-line block ×3, first 2 shown]
	v_add_f32_e32 v18, v31, v34
	v_addc_co_u32_e32 v1, vcc, 0, v1, vcc
	v_sub_f32_e32 v11, v40, v52
	v_sub_f32_e32 v8, v31, v34
	;; [unrolled: 1-line block ×3, first 2 shown]
	global_store_dwordx2 v[2:3], v[18:19], off offset:1344
	global_store_dwordx2 v[2:3], v[16:17], off offset:2704
	;; [unrolled: 1-line block ×6, first 2 shown]
.LBB0_19:
	s_endpgm
	.section	.rodata,"a",@progbits
	.p2align	6, 0x0
	.amdhsa_kernel fft_rtc_back_len1700_factors_17_10_10_wgs_170_tpt_170_halfLds_sp_op_CI_CI_unitstride_sbrr_dirReg
		.amdhsa_group_segment_fixed_size 0
		.amdhsa_private_segment_fixed_size 0
		.amdhsa_kernarg_size 104
		.amdhsa_user_sgpr_count 6
		.amdhsa_user_sgpr_private_segment_buffer 1
		.amdhsa_user_sgpr_dispatch_ptr 0
		.amdhsa_user_sgpr_queue_ptr 0
		.amdhsa_user_sgpr_kernarg_segment_ptr 1
		.amdhsa_user_sgpr_dispatch_id 0
		.amdhsa_user_sgpr_flat_scratch_init 0
		.amdhsa_user_sgpr_private_segment_size 0
		.amdhsa_uses_dynamic_stack 0
		.amdhsa_system_sgpr_private_segment_wavefront_offset 0
		.amdhsa_system_sgpr_workgroup_id_x 1
		.amdhsa_system_sgpr_workgroup_id_y 0
		.amdhsa_system_sgpr_workgroup_id_z 0
		.amdhsa_system_sgpr_workgroup_info 0
		.amdhsa_system_vgpr_workitem_id 0
		.amdhsa_next_free_vgpr 78
		.amdhsa_next_free_sgpr 28
		.amdhsa_reserve_vcc 1
		.amdhsa_reserve_flat_scratch 0
		.amdhsa_float_round_mode_32 0
		.amdhsa_float_round_mode_16_64 0
		.amdhsa_float_denorm_mode_32 3
		.amdhsa_float_denorm_mode_16_64 3
		.amdhsa_dx10_clamp 1
		.amdhsa_ieee_mode 1
		.amdhsa_fp16_overflow 0
		.amdhsa_exception_fp_ieee_invalid_op 0
		.amdhsa_exception_fp_denorm_src 0
		.amdhsa_exception_fp_ieee_div_zero 0
		.amdhsa_exception_fp_ieee_overflow 0
		.amdhsa_exception_fp_ieee_underflow 0
		.amdhsa_exception_fp_ieee_inexact 0
		.amdhsa_exception_int_div_zero 0
	.end_amdhsa_kernel
	.text
.Lfunc_end0:
	.size	fft_rtc_back_len1700_factors_17_10_10_wgs_170_tpt_170_halfLds_sp_op_CI_CI_unitstride_sbrr_dirReg, .Lfunc_end0-fft_rtc_back_len1700_factors_17_10_10_wgs_170_tpt_170_halfLds_sp_op_CI_CI_unitstride_sbrr_dirReg
                                        ; -- End function
	.section	.AMDGPU.csdata,"",@progbits
; Kernel info:
; codeLenInByte = 9292
; NumSgprs: 32
; NumVgprs: 78
; ScratchSize: 0
; MemoryBound: 0
; FloatMode: 240
; IeeeMode: 1
; LDSByteSize: 0 bytes/workgroup (compile time only)
; SGPRBlocks: 3
; VGPRBlocks: 19
; NumSGPRsForWavesPerEU: 32
; NumVGPRsForWavesPerEU: 78
; Occupancy: 3
; WaveLimiterHint : 1
; COMPUTE_PGM_RSRC2:SCRATCH_EN: 0
; COMPUTE_PGM_RSRC2:USER_SGPR: 6
; COMPUTE_PGM_RSRC2:TRAP_HANDLER: 0
; COMPUTE_PGM_RSRC2:TGID_X_EN: 1
; COMPUTE_PGM_RSRC2:TGID_Y_EN: 0
; COMPUTE_PGM_RSRC2:TGID_Z_EN: 0
; COMPUTE_PGM_RSRC2:TIDIG_COMP_CNT: 0
	.type	__hip_cuid_ec580a0713a4c904,@object ; @__hip_cuid_ec580a0713a4c904
	.section	.bss,"aw",@nobits
	.globl	__hip_cuid_ec580a0713a4c904
__hip_cuid_ec580a0713a4c904:
	.byte	0                               ; 0x0
	.size	__hip_cuid_ec580a0713a4c904, 1

	.ident	"AMD clang version 19.0.0git (https://github.com/RadeonOpenCompute/llvm-project roc-6.4.0 25133 c7fe45cf4b819c5991fe208aaa96edf142730f1d)"
	.section	".note.GNU-stack","",@progbits
	.addrsig
	.addrsig_sym __hip_cuid_ec580a0713a4c904
	.amdgpu_metadata
---
amdhsa.kernels:
  - .args:
      - .actual_access:  read_only
        .address_space:  global
        .offset:         0
        .size:           8
        .value_kind:     global_buffer
      - .offset:         8
        .size:           8
        .value_kind:     by_value
      - .actual_access:  read_only
        .address_space:  global
        .offset:         16
        .size:           8
        .value_kind:     global_buffer
      - .actual_access:  read_only
        .address_space:  global
        .offset:         24
        .size:           8
        .value_kind:     global_buffer
      - .actual_access:  read_only
        .address_space:  global
        .offset:         32
        .size:           8
        .value_kind:     global_buffer
      - .offset:         40
        .size:           8
        .value_kind:     by_value
      - .actual_access:  read_only
        .address_space:  global
        .offset:         48
        .size:           8
        .value_kind:     global_buffer
      - .actual_access:  read_only
        .address_space:  global
        .offset:         56
        .size:           8
        .value_kind:     global_buffer
      - .offset:         64
        .size:           4
        .value_kind:     by_value
      - .actual_access:  read_only
        .address_space:  global
        .offset:         72
        .size:           8
        .value_kind:     global_buffer
      - .actual_access:  read_only
        .address_space:  global
        .offset:         80
        .size:           8
        .value_kind:     global_buffer
      - .actual_access:  read_only
        .address_space:  global
        .offset:         88
        .size:           8
        .value_kind:     global_buffer
      - .actual_access:  write_only
        .address_space:  global
        .offset:         96
        .size:           8
        .value_kind:     global_buffer
    .group_segment_fixed_size: 0
    .kernarg_segment_align: 8
    .kernarg_segment_size: 104
    .language:       OpenCL C
    .language_version:
      - 2
      - 0
    .max_flat_workgroup_size: 170
    .name:           fft_rtc_back_len1700_factors_17_10_10_wgs_170_tpt_170_halfLds_sp_op_CI_CI_unitstride_sbrr_dirReg
    .private_segment_fixed_size: 0
    .sgpr_count:     32
    .sgpr_spill_count: 0
    .symbol:         fft_rtc_back_len1700_factors_17_10_10_wgs_170_tpt_170_halfLds_sp_op_CI_CI_unitstride_sbrr_dirReg.kd
    .uniform_work_group_size: 1
    .uses_dynamic_stack: false
    .vgpr_count:     78
    .vgpr_spill_count: 0
    .wavefront_size: 64
amdhsa.target:   amdgcn-amd-amdhsa--gfx906
amdhsa.version:
  - 1
  - 2
...

	.end_amdgpu_metadata
